;; amdgpu-corpus repo=ROCm/rocFFT kind=compiled arch=gfx1201 opt=O3
	.text
	.amdgcn_target "amdgcn-amd-amdhsa--gfx1201"
	.amdhsa_code_object_version 6
	.protected	fft_rtc_back_len286_factors_13_11_2_wgs_52_tpt_26_dp_ip_CI_unitstride_sbrr_C2R_dirReg ; -- Begin function fft_rtc_back_len286_factors_13_11_2_wgs_52_tpt_26_dp_ip_CI_unitstride_sbrr_C2R_dirReg
	.globl	fft_rtc_back_len286_factors_13_11_2_wgs_52_tpt_26_dp_ip_CI_unitstride_sbrr_C2R_dirReg
	.p2align	8
	.type	fft_rtc_back_len286_factors_13_11_2_wgs_52_tpt_26_dp_ip_CI_unitstride_sbrr_C2R_dirReg,@function
fft_rtc_back_len286_factors_13_11_2_wgs_52_tpt_26_dp_ip_CI_unitstride_sbrr_C2R_dirReg: ; @fft_rtc_back_len286_factors_13_11_2_wgs_52_tpt_26_dp_ip_CI_unitstride_sbrr_C2R_dirReg
; %bb.0:
	s_clause 0x2
	s_load_b128 s[4:7], s[0:1], 0x0
	s_load_b64 s[8:9], s[0:1], 0x50
	s_load_b64 s[10:11], s[0:1], 0x18
	v_mul_u32_u24_e32 v1, 0x9d9, v0
	v_mov_b32_e32 v3, 0
	s_delay_alu instid0(VALU_DEP_2) | instskip(SKIP_2) | instid1(VALU_DEP_4)
	v_lshrrev_b32_e32 v9, 16, v1
	v_mov_b32_e32 v1, 0
	v_mov_b32_e32 v2, 0
	;; [unrolled: 1-line block ×3, first 2 shown]
	s_delay_alu instid0(VALU_DEP_4) | instskip(SKIP_2) | instid1(VALU_DEP_1)
	v_lshl_add_u32 v5, ttmp9, 1, v9
	s_wait_kmcnt 0x0
	v_cmp_lt_u64_e64 s2, s[6:7], 2
	s_and_b32 vcc_lo, exec_lo, s2
	s_cbranch_vccnz .LBB0_8
; %bb.1:
	s_load_b64 s[2:3], s[0:1], 0x10
	v_mov_b32_e32 v1, 0
	v_mov_b32_e32 v2, 0
	s_add_nc_u64 s[12:13], s[10:11], 8
	s_mov_b64 s[14:15], 1
	s_wait_kmcnt 0x0
	s_add_nc_u64 s[16:17], s[2:3], 8
	s_mov_b32 s3, 0
.LBB0_2:                                ; =>This Inner Loop Header: Depth=1
	s_load_b64 s[18:19], s[16:17], 0x0
                                        ; implicit-def: $vgpr7_vgpr8
	s_mov_b32 s2, exec_lo
	s_wait_kmcnt 0x0
	v_or_b32_e32 v4, s19, v6
	s_delay_alu instid0(VALU_DEP_1)
	v_cmpx_ne_u64_e32 0, v[3:4]
	s_wait_alu 0xfffe
	s_xor_b32 s20, exec_lo, s2
	s_cbranch_execz .LBB0_4
; %bb.3:                                ;   in Loop: Header=BB0_2 Depth=1
	s_cvt_f32_u32 s2, s18
	s_cvt_f32_u32 s21, s19
	s_sub_nc_u64 s[24:25], 0, s[18:19]
	s_wait_alu 0xfffe
	s_delay_alu instid0(SALU_CYCLE_1) | instskip(SKIP_1) | instid1(SALU_CYCLE_2)
	s_fmamk_f32 s2, s21, 0x4f800000, s2
	s_wait_alu 0xfffe
	v_s_rcp_f32 s2, s2
	s_delay_alu instid0(TRANS32_DEP_1) | instskip(SKIP_1) | instid1(SALU_CYCLE_2)
	s_mul_f32 s2, s2, 0x5f7ffffc
	s_wait_alu 0xfffe
	s_mul_f32 s21, s2, 0x2f800000
	s_wait_alu 0xfffe
	s_delay_alu instid0(SALU_CYCLE_2) | instskip(SKIP_1) | instid1(SALU_CYCLE_2)
	s_trunc_f32 s21, s21
	s_wait_alu 0xfffe
	s_fmamk_f32 s2, s21, 0xcf800000, s2
	s_cvt_u32_f32 s23, s21
	s_wait_alu 0xfffe
	s_delay_alu instid0(SALU_CYCLE_1) | instskip(SKIP_1) | instid1(SALU_CYCLE_2)
	s_cvt_u32_f32 s22, s2
	s_wait_alu 0xfffe
	s_mul_u64 s[26:27], s[24:25], s[22:23]
	s_wait_alu 0xfffe
	s_mul_hi_u32 s29, s22, s27
	s_mul_i32 s28, s22, s27
	s_mul_hi_u32 s2, s22, s26
	s_mul_i32 s30, s23, s26
	s_wait_alu 0xfffe
	s_add_nc_u64 s[28:29], s[2:3], s[28:29]
	s_mul_hi_u32 s21, s23, s26
	s_mul_hi_u32 s31, s23, s27
	s_add_co_u32 s2, s28, s30
	s_wait_alu 0xfffe
	s_add_co_ci_u32 s2, s29, s21
	s_mul_i32 s26, s23, s27
	s_add_co_ci_u32 s27, s31, 0
	s_wait_alu 0xfffe
	s_add_nc_u64 s[26:27], s[2:3], s[26:27]
	s_wait_alu 0xfffe
	v_add_co_u32 v4, s2, s22, s26
	s_delay_alu instid0(VALU_DEP_1) | instskip(SKIP_1) | instid1(VALU_DEP_1)
	s_cmp_lg_u32 s2, 0
	s_add_co_ci_u32 s23, s23, s27
	v_readfirstlane_b32 s22, v4
	s_wait_alu 0xfffe
	s_delay_alu instid0(VALU_DEP_1)
	s_mul_u64 s[24:25], s[24:25], s[22:23]
	s_wait_alu 0xfffe
	s_mul_hi_u32 s27, s22, s25
	s_mul_i32 s26, s22, s25
	s_mul_hi_u32 s2, s22, s24
	s_mul_i32 s28, s23, s24
	s_wait_alu 0xfffe
	s_add_nc_u64 s[26:27], s[2:3], s[26:27]
	s_mul_hi_u32 s21, s23, s24
	s_mul_hi_u32 s22, s23, s25
	s_wait_alu 0xfffe
	s_add_co_u32 s2, s26, s28
	s_add_co_ci_u32 s2, s27, s21
	s_mul_i32 s24, s23, s25
	s_add_co_ci_u32 s25, s22, 0
	s_wait_alu 0xfffe
	s_add_nc_u64 s[24:25], s[2:3], s[24:25]
	s_wait_alu 0xfffe
	v_add_co_u32 v4, s2, v4, s24
	s_delay_alu instid0(VALU_DEP_1) | instskip(SKIP_1) | instid1(VALU_DEP_1)
	s_cmp_lg_u32 s2, 0
	s_add_co_ci_u32 s2, s23, s25
	v_mul_hi_u32 v14, v5, v4
	s_wait_alu 0xfffe
	v_mad_co_u64_u32 v[7:8], null, v5, s2, 0
	v_mad_co_u64_u32 v[10:11], null, v6, v4, 0
	;; [unrolled: 1-line block ×3, first 2 shown]
	s_delay_alu instid0(VALU_DEP_3) | instskip(SKIP_1) | instid1(VALU_DEP_4)
	v_add_co_u32 v4, vcc_lo, v14, v7
	s_wait_alu 0xfffd
	v_add_co_ci_u32_e32 v7, vcc_lo, 0, v8, vcc_lo
	s_delay_alu instid0(VALU_DEP_2) | instskip(SKIP_1) | instid1(VALU_DEP_2)
	v_add_co_u32 v4, vcc_lo, v4, v10
	s_wait_alu 0xfffd
	v_add_co_ci_u32_e32 v4, vcc_lo, v7, v11, vcc_lo
	s_wait_alu 0xfffd
	v_add_co_ci_u32_e32 v7, vcc_lo, 0, v13, vcc_lo
	s_delay_alu instid0(VALU_DEP_2) | instskip(SKIP_1) | instid1(VALU_DEP_2)
	v_add_co_u32 v4, vcc_lo, v4, v12
	s_wait_alu 0xfffd
	v_add_co_ci_u32_e32 v10, vcc_lo, 0, v7, vcc_lo
	s_delay_alu instid0(VALU_DEP_2) | instskip(SKIP_1) | instid1(VALU_DEP_3)
	v_mul_lo_u32 v11, s19, v4
	v_mad_co_u64_u32 v[7:8], null, s18, v4, 0
	v_mul_lo_u32 v12, s18, v10
	s_delay_alu instid0(VALU_DEP_2) | instskip(NEXT) | instid1(VALU_DEP_2)
	v_sub_co_u32 v7, vcc_lo, v5, v7
	v_add3_u32 v8, v8, v12, v11
	s_delay_alu instid0(VALU_DEP_1) | instskip(SKIP_1) | instid1(VALU_DEP_1)
	v_sub_nc_u32_e32 v11, v6, v8
	s_wait_alu 0xfffd
	v_subrev_co_ci_u32_e64 v11, s2, s19, v11, vcc_lo
	v_add_co_u32 v12, s2, v4, 2
	s_wait_alu 0xf1ff
	v_add_co_ci_u32_e64 v13, s2, 0, v10, s2
	v_sub_co_u32 v14, s2, v7, s18
	v_sub_co_ci_u32_e32 v8, vcc_lo, v6, v8, vcc_lo
	s_wait_alu 0xf1ff
	v_subrev_co_ci_u32_e64 v11, s2, 0, v11, s2
	s_delay_alu instid0(VALU_DEP_3) | instskip(NEXT) | instid1(VALU_DEP_3)
	v_cmp_le_u32_e32 vcc_lo, s18, v14
	v_cmp_eq_u32_e64 s2, s19, v8
	s_wait_alu 0xfffd
	v_cndmask_b32_e64 v14, 0, -1, vcc_lo
	v_cmp_le_u32_e32 vcc_lo, s19, v11
	s_wait_alu 0xfffd
	v_cndmask_b32_e64 v15, 0, -1, vcc_lo
	v_cmp_le_u32_e32 vcc_lo, s18, v7
	;; [unrolled: 3-line block ×3, first 2 shown]
	s_wait_alu 0xfffd
	v_cndmask_b32_e64 v16, 0, -1, vcc_lo
	v_cmp_eq_u32_e32 vcc_lo, s19, v11
	s_wait_alu 0xf1ff
	s_delay_alu instid0(VALU_DEP_2)
	v_cndmask_b32_e64 v7, v16, v7, s2
	s_wait_alu 0xfffd
	v_cndmask_b32_e32 v11, v15, v14, vcc_lo
	v_add_co_u32 v14, vcc_lo, v4, 1
	s_wait_alu 0xfffd
	v_add_co_ci_u32_e32 v15, vcc_lo, 0, v10, vcc_lo
	s_delay_alu instid0(VALU_DEP_3) | instskip(SKIP_1) | instid1(VALU_DEP_2)
	v_cmp_ne_u32_e32 vcc_lo, 0, v11
	s_wait_alu 0xfffd
	v_dual_cndmask_b32 v8, v15, v13 :: v_dual_cndmask_b32 v11, v14, v12
	v_cmp_ne_u32_e32 vcc_lo, 0, v7
	s_wait_alu 0xfffd
	s_delay_alu instid0(VALU_DEP_2)
	v_dual_cndmask_b32 v8, v10, v8 :: v_dual_cndmask_b32 v7, v4, v11
.LBB0_4:                                ;   in Loop: Header=BB0_2 Depth=1
	s_wait_alu 0xfffe
	s_and_not1_saveexec_b32 s2, s20
	s_cbranch_execz .LBB0_6
; %bb.5:                                ;   in Loop: Header=BB0_2 Depth=1
	v_cvt_f32_u32_e32 v4, s18
	s_sub_co_i32 s20, 0, s18
	s_delay_alu instid0(VALU_DEP_1) | instskip(NEXT) | instid1(TRANS32_DEP_1)
	v_rcp_iflag_f32_e32 v4, v4
	v_mul_f32_e32 v4, 0x4f7ffffe, v4
	s_delay_alu instid0(VALU_DEP_1) | instskip(SKIP_1) | instid1(VALU_DEP_1)
	v_cvt_u32_f32_e32 v4, v4
	s_wait_alu 0xfffe
	v_mul_lo_u32 v7, s20, v4
	s_delay_alu instid0(VALU_DEP_1) | instskip(NEXT) | instid1(VALU_DEP_1)
	v_mul_hi_u32 v7, v4, v7
	v_add_nc_u32_e32 v4, v4, v7
	s_delay_alu instid0(VALU_DEP_1) | instskip(NEXT) | instid1(VALU_DEP_1)
	v_mul_hi_u32 v4, v5, v4
	v_mul_lo_u32 v7, v4, s18
	v_add_nc_u32_e32 v8, 1, v4
	s_delay_alu instid0(VALU_DEP_2) | instskip(NEXT) | instid1(VALU_DEP_1)
	v_sub_nc_u32_e32 v7, v5, v7
	v_subrev_nc_u32_e32 v10, s18, v7
	v_cmp_le_u32_e32 vcc_lo, s18, v7
	s_wait_alu 0xfffd
	s_delay_alu instid0(VALU_DEP_2) | instskip(NEXT) | instid1(VALU_DEP_1)
	v_dual_cndmask_b32 v7, v7, v10 :: v_dual_cndmask_b32 v4, v4, v8
	v_cmp_le_u32_e32 vcc_lo, s18, v7
	s_delay_alu instid0(VALU_DEP_2) | instskip(SKIP_1) | instid1(VALU_DEP_1)
	v_add_nc_u32_e32 v8, 1, v4
	s_wait_alu 0xfffd
	v_dual_cndmask_b32 v7, v4, v8 :: v_dual_mov_b32 v8, v3
.LBB0_6:                                ;   in Loop: Header=BB0_2 Depth=1
	s_wait_alu 0xfffe
	s_or_b32 exec_lo, exec_lo, s2
	s_load_b64 s[20:21], s[12:13], 0x0
	s_delay_alu instid0(VALU_DEP_1)
	v_mul_lo_u32 v4, v8, s18
	v_mul_lo_u32 v12, v7, s19
	v_mad_co_u64_u32 v[10:11], null, v7, s18, 0
	s_add_nc_u64 s[14:15], s[14:15], 1
	s_add_nc_u64 s[12:13], s[12:13], 8
	s_wait_alu 0xfffe
	v_cmp_ge_u64_e64 s2, s[14:15], s[6:7]
	s_add_nc_u64 s[16:17], s[16:17], 8
	s_delay_alu instid0(VALU_DEP_2) | instskip(NEXT) | instid1(VALU_DEP_3)
	v_add3_u32 v4, v11, v12, v4
	v_sub_co_u32 v5, vcc_lo, v5, v10
	s_wait_alu 0xfffd
	s_delay_alu instid0(VALU_DEP_2) | instskip(SKIP_3) | instid1(VALU_DEP_2)
	v_sub_co_ci_u32_e32 v4, vcc_lo, v6, v4, vcc_lo
	s_and_b32 vcc_lo, exec_lo, s2
	s_wait_kmcnt 0x0
	v_mul_lo_u32 v6, s21, v5
	v_mul_lo_u32 v4, s20, v4
	v_mad_co_u64_u32 v[1:2], null, s20, v5, v[1:2]
	s_delay_alu instid0(VALU_DEP_1)
	v_add3_u32 v2, v6, v2, v4
	s_wait_alu 0xfffe
	s_cbranch_vccnz .LBB0_9
; %bb.7:                                ;   in Loop: Header=BB0_2 Depth=1
	v_dual_mov_b32 v5, v7 :: v_dual_mov_b32 v6, v8
	s_branch .LBB0_2
.LBB0_8:
	v_dual_mov_b32 v8, v6 :: v_dual_mov_b32 v7, v5
.LBB0_9:
	s_lshl_b64 s[2:3], s[6:7], 3
	v_mul_hi_u32 v3, 0x9d89d8a, v0
	s_wait_alu 0xfffe
	s_add_nc_u64 s[2:3], s[10:11], s[2:3]
	v_and_b32_e32 v6, 1, v9
	s_load_b64 s[2:3], s[2:3], 0x0
	s_load_b64 s[0:1], s[0:1], 0x20
	s_delay_alu instid0(VALU_DEP_2) | instskip(SKIP_4) | instid1(VALU_DEP_1)
	v_mul_u32_u24_e32 v3, 26, v3
	s_wait_kmcnt 0x0
	v_mul_lo_u32 v4, s2, v8
	v_mul_lo_u32 v5, s3, v7
	v_mad_co_u64_u32 v[1:2], null, s2, v7, v[1:2]
	v_add3_u32 v2, v5, v2, v4
	v_mov_b32_e32 v5, 0
	v_cmp_eq_u32_e32 vcc_lo, 1, v6
	v_sub_nc_u32_e32 v4, v0, v3
	s_delay_alu instid0(VALU_DEP_4) | instskip(SKIP_3) | instid1(VALU_DEP_2)
	v_lshlrev_b64_e32 v[58:59], 4, v[1:2]
	s_wait_alu 0xfffd
	v_cndmask_b32_e64 v6, 0, 0x11f, vcc_lo
	v_cmp_gt_u64_e32 vcc_lo, s[0:1], v[7:8]
	v_dual_mov_b32 v56, v4 :: v_dual_lshlrev_b32 v137, 4, v6
	s_and_saveexec_b32 s1, vcc_lo
	s_cbranch_execz .LBB0_13
; %bb.10:
	v_lshlrev_b64_e32 v[2:3], 4, v[4:5]
	v_add_co_u32 v0, s0, s8, v58
	s_wait_alu 0xf1ff
	v_add_co_ci_u32_e64 v1, s0, s9, v59, s0
	s_mov_b32 s2, exec_lo
	s_delay_alu instid0(VALU_DEP_2) | instskip(SKIP_1) | instid1(VALU_DEP_2)
	v_add_co_u32 v2, s0, v0, v2
	s_wait_alu 0xf1ff
	v_add_co_ci_u32_e64 v3, s0, v1, v3, s0
	s_clause 0xa
	global_load_b128 v[8:11], v[2:3], off
	global_load_b128 v[12:15], v[2:3], off offset:416
	global_load_b128 v[16:19], v[2:3], off offset:832
	;; [unrolled: 1-line block ×10, first 2 shown]
	v_lshlrev_b32_e32 v2, 4, v4
	s_delay_alu instid0(VALU_DEP_1)
	v_add3_u32 v7, 0, v137, v2
	v_dual_mov_b32 v2, v4 :: v_dual_mov_b32 v3, v5
	s_wait_loadcnt 0xa
	ds_store_b128 v7, v[8:11]
	s_wait_loadcnt 0x9
	ds_store_b128 v7, v[12:15] offset:416
	s_wait_loadcnt 0x8
	ds_store_b128 v7, v[16:19] offset:832
	;; [unrolled: 2-line block ×10, first 2 shown]
	v_cmpx_eq_u32_e32 25, v4
	s_cbranch_execz .LBB0_12
; %bb.11:
	global_load_b128 v[8:11], v[0:1], off offset:4576
	v_mov_b32_e32 v2, 25
	v_dual_mov_b32 v3, 0 :: v_dual_mov_b32 v4, 25
	s_wait_loadcnt 0x0
	ds_store_b128 v7, v[8:11] offset:4176
.LBB0_12:
	s_wait_alu 0xfffe
	s_or_b32 exec_lo, exec_lo, s2
	v_dual_mov_b32 v56, v4 :: v_dual_mov_b32 v5, v3
	v_mov_b32_e32 v4, v2
.LBB0_13:
	s_wait_alu 0xfffe
	s_or_b32 exec_lo, exec_lo, s1
	v_lshl_add_u32 v136, v6, 4, 0
	v_lshlrev_b32_e32 v0, 4, v56
	global_wb scope:SCOPE_SE
	s_wait_dscnt 0x0
	s_barrier_signal -1
	s_barrier_wait -1
	global_inv scope:SCOPE_SE
	v_add_nc_u32_e32 v138, v136, v0
	v_sub_nc_u32_e32 v7, v136, v0
	v_lshlrev_b64_e32 v[60:61], 4, v[4:5]
	s_mov_b32 s1, exec_lo
	ds_load_b64 v[2:3], v138
	ds_load_b64 v[8:9], v7 offset:4576
	s_wait_dscnt 0x0
	v_add_f64_e32 v[0:1], v[2:3], v[8:9]
	v_add_f64_e64 v[2:3], v[2:3], -v[8:9]
	v_cmpx_ne_u32_e32 0, v56
	s_wait_alu 0xfffe
	s_xor_b32 s1, exec_lo, s1
	s_cbranch_execz .LBB0_15
; %bb.14:
	v_add_co_u32 v4, s0, s4, v60
	s_wait_alu 0xf1ff
	v_add_co_ci_u32_e64 v5, s0, s5, v61, s0
	global_load_b128 v[8:11], v[4:5], off offset:4368
	ds_load_b64 v[4:5], v7 offset:4584
	ds_load_b64 v[12:13], v138 offset:8
	s_wait_dscnt 0x0
	v_add_f64_e32 v[14:15], v[4:5], v[12:13]
	v_add_f64_e64 v[4:5], v[12:13], -v[4:5]
	s_wait_loadcnt 0x0
	v_fma_f64 v[12:13], v[2:3], v[10:11], v[0:1]
	s_delay_alu instid0(VALU_DEP_2) | instskip(SKIP_2) | instid1(VALU_DEP_4)
	v_fma_f64 v[16:17], v[14:15], v[10:11], v[4:5]
	v_fma_f64 v[0:1], -v[2:3], v[10:11], v[0:1]
	v_fma_f64 v[4:5], v[14:15], v[10:11], -v[4:5]
	v_fma_f64 v[10:11], -v[14:15], v[8:9], v[12:13]
	s_delay_alu instid0(VALU_DEP_4) | instskip(NEXT) | instid1(VALU_DEP_4)
	v_fma_f64 v[12:13], v[2:3], v[8:9], v[16:17]
	v_fma_f64 v[0:1], v[14:15], v[8:9], v[0:1]
	s_delay_alu instid0(VALU_DEP_4)
	v_fma_f64 v[2:3], v[2:3], v[8:9], v[4:5]
	ds_store_b128 v138, v[10:13]
	ds_store_b128 v7, v[0:3] offset:4576
                                        ; implicit-def: $vgpr0_vgpr1
.LBB0_15:
	s_wait_alu 0xfffe
	s_and_not1_saveexec_b32 s0, s1
	s_cbranch_execz .LBB0_17
; %bb.16:
	ds_store_b128 v138, v[0:3]
	ds_load_b128 v[0:3], v136 offset:2288
	s_wait_dscnt 0x0
	v_add_f64_e32 v[0:1], v[0:1], v[0:1]
	v_mul_f64_e32 v[2:3], -2.0, v[2:3]
	ds_store_b128 v136, v[0:3] offset:2288
.LBB0_17:
	s_wait_alu 0xfffe
	s_or_b32 exec_lo, exec_lo, s0
	v_mov_b32_e32 v57, 0
	s_add_nc_u64 s[0:1], s[4:5], 0x1110
	s_delay_alu instid0(VALU_DEP_1) | instskip(SKIP_1) | instid1(VALU_DEP_1)
	v_lshlrev_b64_e32 v[62:63], 4, v[56:57]
	s_wait_alu 0xfffe
	v_add_co_u32 v0, s0, s0, v62
	s_wait_alu 0xf1ff
	s_delay_alu instid0(VALU_DEP_2)
	v_add_co_ci_u32_e64 v1, s0, s1, v63, s0
	v_cmp_gt_u32_e64 s0, 13, v56
	s_clause 0x1
	global_load_b128 v[2:5], v[0:1], off offset:416
	global_load_b128 v[8:11], v[0:1], off offset:832
	ds_load_b128 v[12:15], v138 offset:416
	ds_load_b128 v[16:19], v7 offset:4160
	global_load_b128 v[20:23], v[0:1], off offset:1248
	s_wait_dscnt 0x0
	v_add_f64_e32 v[24:25], v[12:13], v[16:17]
	v_add_f64_e32 v[26:27], v[18:19], v[14:15]
	v_add_f64_e64 v[28:29], v[12:13], -v[16:17]
	v_add_f64_e64 v[12:13], v[14:15], -v[18:19]
	s_wait_loadcnt 0x2
	s_delay_alu instid0(VALU_DEP_2) | instskip(NEXT) | instid1(VALU_DEP_2)
	v_fma_f64 v[14:15], v[28:29], v[4:5], v[24:25]
	v_fma_f64 v[16:17], v[26:27], v[4:5], v[12:13]
	v_fma_f64 v[18:19], -v[28:29], v[4:5], v[24:25]
	v_fma_f64 v[4:5], v[26:27], v[4:5], -v[12:13]
	s_delay_alu instid0(VALU_DEP_4) | instskip(NEXT) | instid1(VALU_DEP_4)
	v_fma_f64 v[12:13], -v[26:27], v[2:3], v[14:15]
	v_fma_f64 v[14:15], v[28:29], v[2:3], v[16:17]
	s_delay_alu instid0(VALU_DEP_4) | instskip(NEXT) | instid1(VALU_DEP_4)
	v_fma_f64 v[16:17], v[26:27], v[2:3], v[18:19]
	v_fma_f64 v[18:19], v[28:29], v[2:3], v[4:5]
	ds_store_b128 v138, v[12:15] offset:416
	ds_store_b128 v7, v[16:19] offset:4160
	ds_load_b128 v[2:5], v138 offset:832
	ds_load_b128 v[12:15], v7 offset:3744
	global_load_b128 v[16:19], v[0:1], off offset:1664
	s_wait_dscnt 0x0
	v_add_f64_e32 v[24:25], v[2:3], v[12:13]
	v_add_f64_e32 v[26:27], v[14:15], v[4:5]
	v_add_f64_e64 v[12:13], v[2:3], -v[12:13]
	v_add_f64_e64 v[2:3], v[4:5], -v[14:15]
	s_wait_loadcnt 0x2
	s_delay_alu instid0(VALU_DEP_2) | instskip(NEXT) | instid1(VALU_DEP_2)
	v_fma_f64 v[4:5], v[12:13], v[10:11], v[24:25]
	v_fma_f64 v[14:15], v[26:27], v[10:11], v[2:3]
	v_fma_f64 v[24:25], -v[12:13], v[10:11], v[24:25]
	v_fma_f64 v[28:29], v[26:27], v[10:11], -v[2:3]
	s_delay_alu instid0(VALU_DEP_4) | instskip(NEXT) | instid1(VALU_DEP_4)
	v_fma_f64 v[2:3], -v[26:27], v[8:9], v[4:5]
	v_fma_f64 v[4:5], v[12:13], v[8:9], v[14:15]
	s_delay_alu instid0(VALU_DEP_4) | instskip(NEXT) | instid1(VALU_DEP_4)
	v_fma_f64 v[10:11], v[26:27], v[8:9], v[24:25]
	v_fma_f64 v[12:13], v[12:13], v[8:9], v[28:29]
	ds_store_b128 v138, v[2:5] offset:832
	ds_store_b128 v7, v[10:13] offset:3744
	ds_load_b128 v[2:5], v138 offset:1248
	ds_load_b128 v[8:11], v7 offset:3328
	s_wait_dscnt 0x0
	v_add_f64_e32 v[12:13], v[2:3], v[8:9]
	v_add_f64_e32 v[14:15], v[10:11], v[4:5]
	v_add_f64_e64 v[24:25], v[2:3], -v[8:9]
	v_add_f64_e64 v[2:3], v[4:5], -v[10:11]
	s_wait_loadcnt 0x1
	s_delay_alu instid0(VALU_DEP_2) | instskip(NEXT) | instid1(VALU_DEP_2)
	v_fma_f64 v[4:5], v[24:25], v[22:23], v[12:13]
	v_fma_f64 v[8:9], v[14:15], v[22:23], v[2:3]
	v_fma_f64 v[10:11], -v[24:25], v[22:23], v[12:13]
	v_fma_f64 v[12:13], v[14:15], v[22:23], -v[2:3]
	s_delay_alu instid0(VALU_DEP_4) | instskip(NEXT) | instid1(VALU_DEP_4)
	v_fma_f64 v[2:3], -v[14:15], v[20:21], v[4:5]
	v_fma_f64 v[4:5], v[24:25], v[20:21], v[8:9]
	s_delay_alu instid0(VALU_DEP_4) | instskip(NEXT) | instid1(VALU_DEP_4)
	v_fma_f64 v[8:9], v[14:15], v[20:21], v[10:11]
	v_fma_f64 v[10:11], v[24:25], v[20:21], v[12:13]
	ds_store_b128 v138, v[2:5] offset:1248
	ds_store_b128 v7, v[8:11] offset:3328
	ds_load_b128 v[2:5], v138 offset:1664
	ds_load_b128 v[8:11], v7 offset:2912
	s_wait_dscnt 0x0
	v_add_f64_e32 v[12:13], v[2:3], v[8:9]
	v_add_f64_e32 v[14:15], v[10:11], v[4:5]
	v_add_f64_e64 v[20:21], v[2:3], -v[8:9]
	v_add_f64_e64 v[2:3], v[4:5], -v[10:11]
	s_wait_loadcnt 0x0
	s_delay_alu instid0(VALU_DEP_2) | instskip(NEXT) | instid1(VALU_DEP_2)
	v_fma_f64 v[4:5], v[20:21], v[18:19], v[12:13]
	v_fma_f64 v[8:9], v[14:15], v[18:19], v[2:3]
	v_fma_f64 v[10:11], -v[20:21], v[18:19], v[12:13]
	v_fma_f64 v[12:13], v[14:15], v[18:19], -v[2:3]
	s_delay_alu instid0(VALU_DEP_4) | instskip(NEXT) | instid1(VALU_DEP_4)
	v_fma_f64 v[2:3], -v[14:15], v[16:17], v[4:5]
	v_fma_f64 v[4:5], v[20:21], v[16:17], v[8:9]
	s_delay_alu instid0(VALU_DEP_4) | instskip(NEXT) | instid1(VALU_DEP_4)
	v_fma_f64 v[8:9], v[14:15], v[16:17], v[10:11]
	v_fma_f64 v[10:11], v[20:21], v[16:17], v[12:13]
	ds_store_b128 v138, v[2:5] offset:1664
	ds_store_b128 v7, v[8:11] offset:2912
	s_and_saveexec_b32 s1, s0
	s_cbranch_execz .LBB0_19
; %bb.18:
	global_load_b128 v[0:3], v[0:1], off offset:2080
	ds_load_b128 v[8:11], v138 offset:2080
	ds_load_b128 v[12:15], v7 offset:2496
	s_wait_dscnt 0x0
	v_add_f64_e32 v[4:5], v[8:9], v[12:13]
	v_add_f64_e32 v[16:17], v[14:15], v[10:11]
	v_add_f64_e64 v[12:13], v[8:9], -v[12:13]
	v_add_f64_e64 v[8:9], v[10:11], -v[14:15]
	s_wait_loadcnt 0x0
	s_delay_alu instid0(VALU_DEP_2) | instskip(NEXT) | instid1(VALU_DEP_2)
	v_fma_f64 v[10:11], v[12:13], v[2:3], v[4:5]
	v_fma_f64 v[14:15], v[16:17], v[2:3], v[8:9]
	v_fma_f64 v[18:19], -v[12:13], v[2:3], v[4:5]
	v_fma_f64 v[20:21], v[16:17], v[2:3], -v[8:9]
	s_delay_alu instid0(VALU_DEP_4) | instskip(NEXT) | instid1(VALU_DEP_4)
	v_fma_f64 v[2:3], -v[16:17], v[0:1], v[10:11]
	v_fma_f64 v[4:5], v[12:13], v[0:1], v[14:15]
	s_delay_alu instid0(VALU_DEP_4) | instskip(NEXT) | instid1(VALU_DEP_4)
	v_fma_f64 v[8:9], v[16:17], v[0:1], v[18:19]
	v_fma_f64 v[10:11], v[12:13], v[0:1], v[20:21]
	ds_store_b128 v138, v[2:5] offset:2080
	ds_store_b128 v7, v[8:11] offset:2496
.LBB0_19:
	s_wait_alu 0xfffe
	s_or_b32 exec_lo, exec_lo, s1
	v_lshl_add_u32 v139, v56, 4, 0
	global_wb scope:SCOPE_SE
	s_wait_dscnt 0x0
	s_barrier_signal -1
	s_barrier_wait -1
	global_inv scope:SCOPE_SE
	v_lshl_add_u32 v57, v6, 4, v139
	global_wb scope:SCOPE_SE
	s_barrier_signal -1
	s_barrier_wait -1
	global_inv scope:SCOPE_SE
	ds_load_b128 v[4:7], v57 offset:4224
	ds_load_b128 v[44:47], v57 offset:352
	ds_load_b128 v[20:23], v138
	ds_load_b128 v[8:11], v57 offset:3872
	ds_load_b128 v[52:55], v57 offset:704
	s_mov_b32 s2, 0x1ea71119
	s_mov_b32 s22, 0x42a4c3d2
	s_mov_b32 s3, 0x3fe22d96
	s_mov_b32 s23, 0xbfea55e2
	ds_load_b128 v[48:51], v57 offset:1056
	ds_load_b128 v[12:15], v57 offset:3520
	s_mov_b32 s6, 0xb2365da1
	s_mov_b32 s20, 0x2ef20147
	s_mov_b32 s7, 0xbfd6b1d8
	s_mov_b32 s21, 0xbfedeba7
	;; [unrolled: 6-line block ×3, first 2 shown]
	ds_load_b128 v[28:31], v57 offset:1760
	ds_load_b128 v[24:27], v57 offset:2816
	s_mov_b32 s28, 0x24c2f84
	s_mov_b32 s12, 0xd0032e0c
	s_wait_dscnt 0x9
	v_add_f64_e64 v[98:99], v[46:47], -v[6:7]
	v_add_f64_e32 v[78:79], v[46:47], v[6:7]
	v_add_f64_e32 v[80:81], v[44:45], v[4:5]
	v_add_f64_e64 v[106:107], v[44:45], -v[4:5]
	s_wait_dscnt 0x6
	v_add_f64_e64 v[132:133], v[54:55], -v[10:11]
	v_add_f64_e32 v[84:85], v[54:55], v[10:11]
	v_add_f64_e32 v[82:83], v[52:53], v[8:9]
	v_add_f64_e64 v[134:135], v[52:53], -v[8:9]
	;; [unrolled: 5-line block ×3, first 2 shown]
	s_wait_dscnt 0x2
	v_add_f64_e64 v[86:87], v[42:43], -v[18:19]
	v_add_f64_e32 v[70:71], v[42:43], v[18:19]
	s_mov_b32 s29, 0x3fe5384d
	s_mov_b32 s13, 0xbfe7f3cc
	v_add_f64_e32 v[74:75], v[40:41], v[16:17]
	v_add_f64_e64 v[94:95], v[40:41], -v[16:17]
	s_wait_dscnt 0x0
	v_add_f64_e64 v[88:89], v[30:31], -v[26:27]
	v_add_f64_e32 v[66:67], v[30:31], v[26:27]
	s_mov_b32 s14, 0xebaa3ed8
	s_mov_b32 s15, 0x3fbedb7d
	s_mov_b32 s19, 0x3fefc445
	s_mov_b32 s18, 0x66966769
	v_add_f64_e32 v[72:73], v[28:29], v[24:25]
	v_add_f64_e64 v[110:111], v[28:29], -v[24:25]
	s_mov_b32 s16, 0xe00740e9
	s_mov_b32 s17, 0x3fec55a7
	;; [unrolled: 1-line block ×4, first 2 shown]
	s_mov_b32 s33, exec_lo
	s_wait_alu 0xfffe
	v_mul_f64_e32 v[100:101], s[22:23], v[98:99]
	v_mul_f64_e32 v[102:103], s[2:3], v[78:79]
	;; [unrolled: 1-line block ×10, first 2 shown]
	v_fma_f64 v[0:1], v[80:81], s[2:3], -v[100:101]
	v_fma_f64 v[2:3], v[106:107], s[22:23], v[102:103]
	v_fma_f64 v[32:33], v[82:83], s[6:7], -v[92:93]
	v_fma_f64 v[34:35], v[134:135], s[20:21], v[96:97]
	;; [unrolled: 2-line block ×5, first 2 shown]
	v_add_f64_e32 v[0:1], v[20:21], v[0:1]
	v_add_f64_e32 v[2:3], v[22:23], v[2:3]
	s_delay_alu instid0(VALU_DEP_2) | instskip(NEXT) | instid1(VALU_DEP_2)
	v_add_f64_e32 v[0:1], v[32:33], v[0:1]
	v_add_f64_e32 v[2:3], v[34:35], v[2:3]
	ds_load_b128 v[36:39], v57 offset:2112
	ds_load_b128 v[32:35], v57 offset:2464
	global_wb scope:SCOPE_SE
	s_wait_dscnt 0x0
	s_barrier_signal -1
	s_barrier_wait -1
	global_inv scope:SCOPE_SE
	v_add_f64_e64 v[104:105], v[38:39], -v[34:35]
	v_add_f64_e32 v[64:65], v[38:39], v[34:35]
	v_add_f64_e32 v[0:1], v[68:69], v[0:1]
	;; [unrolled: 1-line block ×4, first 2 shown]
	v_add_f64_e64 v[112:113], v[36:37], -v[32:33]
	v_mul_f64_e32 v[128:129], s[26:27], v[104:105]
	v_mul_f64_e32 v[130:131], s[16:17], v[64:65]
	v_add_f64_e32 v[0:1], v[140:141], v[0:1]
	v_add_f64_e32 v[2:3], v[142:143], v[2:3]
	s_delay_alu instid0(VALU_DEP_4) | instskip(NEXT) | instid1(VALU_DEP_4)
	v_fma_f64 v[140:141], v[68:69], s[16:17], -v[128:129]
	v_fma_f64 v[142:143], v[112:113], s[26:27], v[130:131]
	s_delay_alu instid0(VALU_DEP_4) | instskip(NEXT) | instid1(VALU_DEP_4)
	v_add_f64_e32 v[0:1], v[144:145], v[0:1]
	v_add_f64_e32 v[2:3], v[146:147], v[2:3]
	s_delay_alu instid0(VALU_DEP_2) | instskip(NEXT) | instid1(VALU_DEP_2)
	v_add_f64_e32 v[0:1], v[140:141], v[0:1]
	v_add_f64_e32 v[2:3], v[142:143], v[2:3]
	v_cmpx_gt_u32_e32 22, v56
	s_cbranch_execz .LBB0_21
; %bb.20:
	v_add_f64_e32 v[46:47], v[22:23], v[46:47]
	v_add_f64_e32 v[44:45], v[20:21], v[44:45]
	v_mul_f64_e32 v[146:147], s[22:23], v[106:107]
	v_mul_f64_e32 v[154:155], s[24:25], v[106:107]
	;; [unrolled: 1-line block ×4, first 2 shown]
	s_mov_b32 s31, 0xbfe5384d
	s_mov_b32 s30, s28
	v_mul_f64_e32 v[158:159], s[18:19], v[134:135]
	v_mul_f64_e32 v[160:161], s[18:19], v[132:133]
	;; [unrolled: 1-line block ×26, first 2 shown]
	s_mov_b32 s37, 0x3fedeba7
	s_mov_b32 s36, s20
	v_mul_f64_e32 v[204:205], s[22:23], v[120:121]
	v_mul_f64_e32 v[206:207], s[22:23], v[108:109]
	v_add_f64_e32 v[140:141], v[46:47], v[54:55]
	v_add_f64_e32 v[142:143], v[44:45], v[52:53]
	v_mul_f64_e32 v[54:55], s[18:19], v[112:113]
	v_mul_f64_e32 v[44:45], s[18:19], v[104:105]
	s_mov_b32 s19, 0xbfefc445
	v_mul_f64_e32 v[52:53], s[26:27], v[110:111]
	s_wait_alu 0xfffe
	v_mul_f64_e32 v[218:219], s[18:19], v[106:107]
	v_mul_f64_e32 v[222:223], s[18:19], v[98:99]
	;; [unrolled: 1-line block ×3, first 2 shown]
	v_add_f64_e64 v[102:103], v[102:103], -v[146:147]
	v_fma_f64 v[146:147], v[78:79], s[10:11], v[154:155]
	v_fma_f64 v[154:155], v[78:79], s[10:11], -v[154:155]
	v_fma_f64 v[234:235], v[80:81], s[10:11], -v[168:169]
	v_fma_f64 v[168:169], v[80:81], s[10:11], v[168:169]
	v_add_f64_e32 v[100:101], v[144:145], v[100:101]
	v_fma_f64 v[144:145], v[78:79], s[6:7], v[164:165]
	v_fma_f64 v[164:165], v[78:79], s[6:7], -v[164:165]
	v_fma_f64 v[236:237], v[80:81], s[6:7], -v[170:171]
	v_fma_f64 v[170:171], v[80:81], s[6:7], v[170:171]
	v_add_f64_e64 v[122:123], v[122:123], -v[172:173]
	v_add_f64_e64 v[116:117], v[116:117], -v[174:175]
	v_add_f64_e32 v[124:125], v[180:181], v[124:125]
	v_add_f64_e32 v[118:119], v[182:183], v[118:119]
	v_fma_f64 v[172:173], v[84:85], s[10:11], v[190:191]
	v_fma_f64 v[174:175], v[84:85], s[10:11], -v[190:191]
	v_fma_f64 v[180:181], v[82:83], s[12:13], -v[192:193]
	v_fma_f64 v[182:183], v[82:83], s[12:13], v[192:193]
	v_fma_f64 v[190:191], v[80:81], s[12:13], v[220:221]
	v_add_f64_e64 v[130:131], v[130:131], -v[150:151]
	v_add_f64_e64 v[126:127], v[126:127], -v[148:149]
	v_fma_f64 v[148:149], v[84:85], s[14:15], v[158:159]
	v_fma_f64 v[150:151], v[84:85], s[14:15], -v[158:159]
	v_fma_f64 v[158:159], v[84:85], s[12:13], -v[188:189]
	v_mul_f64_e32 v[224:225], s[30:31], v[120:121]
	v_mul_f64_e32 v[226:227], s[36:37], v[120:121]
	;; [unrolled: 1-line block ×5, first 2 shown]
	v_add_f64_e32 v[140:141], v[140:141], v[50:51]
	v_add_f64_e32 v[142:143], v[142:143], v[48:49]
	v_mul_f64_e32 v[50:51], s[26:27], v[94:95]
	v_mul_f64_e32 v[48:49], s[26:27], v[86:87]
	s_mov_b32 s27, 0xbfddbe06
	v_mul_f64_e32 v[108:109], s[18:19], v[108:109]
	s_wait_alu 0xfffe
	v_mul_f64_e32 v[106:107], s[26:27], v[106:107]
	v_mul_f64_e32 v[98:99], s[26:27], v[98:99]
	v_fma_f64 v[192:193], v[78:79], s[14:15], v[218:219]
	v_fma_f64 v[218:219], v[78:79], s[14:15], -v[218:219]
	v_add_f64_e64 v[96:97], v[96:97], -v[176:177]
	v_fma_f64 v[176:177], v[84:85], s[2:3], v[134:135]
	v_add_f64_e32 v[146:147], v[22:23], v[146:147]
	v_add_f64_e32 v[234:235], v[20:21], v[234:235]
	;; [unrolled: 1-line block ×10, first 2 shown]
	v_fma_f64 v[178:179], v[82:83], s[14:15], -v[160:161]
	v_fma_f64 v[160:161], v[82:83], s[14:15], v[160:161]
	v_add_f64_e32 v[236:237], v[20:21], v[236:237]
	s_mov_b32 s29, 0x3fea55e2
	s_mov_b32 s28, s22
	v_add_f64_e32 v[190:191], v[20:21], v[190:191]
	s_mov_b32 s35, 0x3fcea1e5
	s_mov_b32 s34, s24
	v_mul_f64_e32 v[196:197], s[20:21], v[94:95]
	v_mul_f64_e32 v[198:199], s[20:21], v[86:87]
	s_wait_alu 0xfffe
	v_mul_f64_e32 v[232:233], s[28:29], v[94:95]
	v_fma_f64 v[240:241], v[90:91], s[16:17], -v[166:167]
	v_fma_f64 v[166:167], v[90:91], s[16:17], v[166:167]
	v_fma_f64 v[242:243], v[76:77], s[12:13], v[224:225]
	v_fma_f64 v[224:225], v[76:77], s[12:13], -v[224:225]
	v_mul_f64_e32 v[208:209], s[20:21], v[110:111]
	v_add_f64_e32 v[42:43], v[140:141], v[42:43]
	v_add_f64_e32 v[40:41], v[142:143], v[40:41]
	v_mul_f64_e32 v[140:141], s[22:23], v[110:111]
	v_mul_f64_e32 v[142:143], s[20:21], v[88:89]
	;; [unrolled: 1-line block ×5, first 2 shown]
	v_fma_f64 v[238:239], v[80:81], s[16:17], -v[98:99]
	v_add_f64_e32 v[192:193], v[22:23], v[192:193]
	v_add_f64_e32 v[218:219], v[22:23], v[218:219]
	v_mul_f64_e32 v[212:213], s[20:21], v[104:105]
	v_mul_f64_e32 v[214:215], s[24:25], v[104:105]
	v_add_f64_e32 v[158:159], v[158:159], v[164:165]
	v_add_f64_e32 v[170:171], v[182:183], v[170:171]
	;; [unrolled: 1-line block ×3, first 2 shown]
	v_fma_f64 v[164:165], v[70:71], s[16:17], v[50:51]
	v_fma_f64 v[50:51], v[70:71], s[16:17], -v[50:51]
	v_fma_f64 v[102:103], v[74:75], s[16:17], -v[48:49]
	v_fma_f64 v[48:49], v[74:75], s[16:17], v[48:49]
	v_add_f64_e32 v[180:181], v[180:181], v[236:237]
	v_mul_f64_e32 v[236:237], s[28:29], v[104:105]
	v_mul_f64_e32 v[104:105], s[30:31], v[104:105]
	v_add_f64_e32 v[160:161], v[160:161], v[190:191]
	v_fma_f64 v[182:183], v[70:71], s[6:7], v[196:197]
	v_fma_f64 v[196:197], v[70:71], s[6:7], -v[196:197]
	v_add_f64_e32 v[30:31], v[42:43], v[30:31]
	v_add_f64_e32 v[28:29], v[40:41], v[28:29]
	;; [unrolled: 1-line block ×3, first 2 shown]
	v_fma_f64 v[186:187], v[80:81], s[12:13], -v[220:221]
	v_fma_f64 v[220:221], v[80:81], s[14:15], v[222:223]
	v_add_f64_e32 v[40:41], v[184:185], v[114:115]
	v_fma_f64 v[92:93], v[84:85], s[16:17], v[152:153]
	v_fma_f64 v[114:115], v[84:85], s[16:17], -v[152:153]
	v_fma_f64 v[152:153], v[84:85], s[12:13], v[188:189]
	v_fma_f64 v[184:185], v[78:79], s[12:13], v[216:217]
	v_fma_f64 v[188:189], v[78:79], s[12:13], -v[216:217]
	v_fma_f64 v[216:217], v[80:81], s[14:15], -v[222:223]
	v_fma_f64 v[222:223], v[78:79], s[16:17], v[106:107]
	v_fma_f64 v[78:79], v[78:79], s[16:17], -v[106:107]
	v_fma_f64 v[80:81], v[80:81], s[16:17], v[98:99]
	v_fma_f64 v[84:85], v[84:85], s[2:3], -v[134:135]
	v_fma_f64 v[134:135], v[82:83], s[16:17], -v[156:157]
	v_fma_f64 v[156:157], v[82:83], s[16:17], v[156:157]
	v_fma_f64 v[106:107], v[82:83], s[10:11], v[194:195]
	v_fma_f64 v[98:99], v[82:83], s[10:11], -v[194:195]
	v_fma_f64 v[194:195], v[82:83], s[2:3], -v[132:133]
	v_fma_f64 v[82:83], v[82:83], s[2:3], v[132:133]
	v_add_f64_e32 v[238:239], v[20:21], v[238:239]
	v_fma_f64 v[132:133], v[76:77], s[2:3], v[204:205]
	v_fma_f64 v[204:205], v[76:77], s[2:3], -v[204:205]
	v_add_f64_e32 v[174:175], v[174:175], v[218:219]
	v_add_f64_e32 v[172:173], v[172:173], v[192:193]
	;; [unrolled: 1-line block ×3, first 2 shown]
	v_fma_f64 v[218:219], v[66:67], s[6:7], v[208:209]
	v_fma_f64 v[208:209], v[66:67], s[6:7], -v[208:209]
	v_add_f64_e32 v[30:31], v[30:31], v[38:39]
	v_add_f64_e32 v[28:29], v[28:29], v[36:37]
	v_fma_f64 v[36:37], v[76:77], s[16:17], v[162:163]
	v_add_f64_e32 v[186:187], v[20:21], v[186:187]
	v_add_f64_e32 v[220:221], v[20:21], v[220:221]
	v_fma_f64 v[38:39], v[76:77], s[16:17], -v[162:163]
	v_fma_f64 v[162:163], v[90:91], s[2:3], -v[206:207]
	v_fma_f64 v[206:207], v[90:91], s[2:3], v[206:207]
	v_add_f64_e32 v[92:93], v[92:93], v[146:147]
	v_add_f64_e32 v[184:185], v[22:23], v[184:185]
	v_add_f64_e32 v[188:189], v[22:23], v[188:189]
	v_add_f64_e32 v[216:217], v[20:21], v[216:217]
	v_add_f64_e32 v[222:223], v[22:23], v[222:223]
	v_add_f64_e32 v[22:23], v[22:23], v[78:79]
	v_add_f64_e32 v[20:21], v[20:21], v[80:81]
	v_fma_f64 v[78:79], v[76:77], s[6:7], v[226:227]
	v_fma_f64 v[80:81], v[76:77], s[6:7], -v[226:227]
	v_fma_f64 v[226:227], v[76:77], s[14:15], v[120:121]
	v_fma_f64 v[76:77], v[76:77], s[14:15], -v[120:121]
	v_fma_f64 v[120:121], v[90:91], s[12:13], -v[228:229]
	v_fma_f64 v[228:229], v[90:91], s[12:13], v[228:229]
	v_mul_f64_e32 v[146:147], s[28:29], v[86:87]
	v_add_f64_e32 v[134:135], v[134:135], v[234:235]
	v_mul_f64_e32 v[234:235], s[34:35], v[86:87]
	v_mul_f64_e32 v[86:87], s[18:19], v[86:87]
	v_add_f64_e32 v[114:115], v[114:115], v[154:155]
	v_add_f64_e32 v[156:157], v[156:157], v[168:169]
	v_add_f64_e32 v[144:145], v[152:153], v[144:145]
	v_add_f64_e32 v[42:43], v[42:43], v[100:101]
	v_mul_f64_e32 v[168:169], s[34:35], v[110:111]
	v_mul_f64_e32 v[110:111], s[30:31], v[110:111]
	;; [unrolled: 1-line block ×4, first 2 shown]
	v_fma_f64 v[100:101], v[74:75], s[6:7], -v[198:199]
	v_fma_f64 v[198:199], v[74:75], s[6:7], v[198:199]
	v_mul_f64_e32 v[154:155], s[28:29], v[112:113]
	v_mul_f64_e32 v[112:113], s[30:31], v[112:113]
	v_add_f64_e32 v[30:31], v[30:31], v[34:35]
	v_add_f64_e32 v[28:29], v[28:29], v[32:33]
	v_fma_f64 v[32:33], v[90:91], s[6:7], -v[230:231]
	v_fma_f64 v[34:35], v[90:91], s[6:7], v[230:231]
	v_fma_f64 v[230:231], v[90:91], s[14:15], -v[108:109]
	v_fma_f64 v[90:91], v[90:91], s[14:15], v[108:109]
	v_mul_f64_e32 v[108:109], s[34:35], v[94:95]
	v_mul_f64_e32 v[94:95], s[18:19], v[94:95]
	v_add_f64_e32 v[106:107], v[106:107], v[220:221]
	v_add_f64_e32 v[148:149], v[148:149], v[184:185]
	;; [unrolled: 1-line block ×8, first 2 shown]
	v_fma_f64 v[82:83], v[66:67], s[2:3], -v[140:141]
	v_fma_f64 v[84:85], v[70:71], s[2:3], v[232:233]
	v_add_f64_e32 v[38:39], v[38:39], v[158:159]
	v_add_f64_e32 v[80:81], v[80:81], v[174:175]
	;; [unrolled: 1-line block ×3, first 2 shown]
	v_fma_f64 v[220:221], v[66:67], s[16:17], v[52:53]
	v_fma_f64 v[52:53], v[66:67], s[16:17], -v[52:53]
	v_fma_f64 v[216:217], v[74:75], s[10:11], v[234:235]
	v_fma_f64 v[222:223], v[74:75], s[14:15], -v[86:87]
	v_add_f64_e32 v[114:115], v[224:225], v[114:115]
	v_fma_f64 v[184:185], v[64:65], s[14:15], v[54:55]
	v_add_f64_e32 v[36:37], v[36:37], v[144:145]
	v_add_f64_e32 v[144:145], v[166:167], v[170:171]
	;; [unrolled: 1-line block ×3, first 2 shown]
	v_fma_f64 v[54:55], v[64:65], s[14:15], -v[54:55]
	v_fma_f64 v[186:187], v[64:65], s[6:7], v[200:201]
	v_fma_f64 v[158:159], v[72:73], s[12:13], -v[88:89]
	v_fma_f64 v[200:201], v[64:65], s[6:7], -v[200:201]
	v_fma_f64 v[188:189], v[64:65], s[10:11], v[202:203]
	v_fma_f64 v[202:203], v[64:65], s[10:11], -v[202:203]
	v_add_f64_e32 v[26:27], v[30:31], v[26:27]
	v_add_f64_e32 v[24:25], v[28:29], v[24:25]
	;; [unrolled: 1-line block ×3, first 2 shown]
	v_fma_f64 v[30:31], v[66:67], s[2:3], v[140:141]
	v_fma_f64 v[140:141], v[70:71], s[2:3], -v[232:233]
	v_fma_f64 v[194:195], v[74:75], s[10:11], -v[234:235]
	v_fma_f64 v[190:191], v[70:71], s[10:11], v[108:109]
	v_fma_f64 v[108:109], v[70:71], s[10:11], -v[108:109]
	v_fma_f64 v[192:193], v[70:71], s[14:15], v[94:95]
	v_fma_f64 v[70:71], v[70:71], s[14:15], -v[94:95]
	v_fma_f64 v[94:95], v[74:75], s[2:3], -v[146:147]
	v_fma_f64 v[146:147], v[74:75], s[2:3], v[146:147]
	v_fma_f64 v[74:75], v[74:75], s[14:15], v[86:87]
	v_add_f64_e32 v[86:87], v[242:243], v[92:93]
	v_add_f64_e32 v[92:93], v[120:121], v[134:135]
	;; [unrolled: 1-line block ×13, first 2 shown]
	v_fma_f64 v[76:77], v[72:73], s[16:17], -v[46:47]
	v_fma_f64 v[46:47], v[72:73], s[16:17], v[46:47]
	v_fma_f64 v[90:91], v[72:73], s[2:3], -v[210:211]
	v_fma_f64 v[148:149], v[66:67], s[10:11], v[168:169]
	;; [unrolled: 2-line block ×3, first 2 shown]
	v_fma_f64 v[66:67], v[66:67], s[12:13], -v[110:111]
	v_fma_f64 v[110:111], v[72:73], s[10:11], -v[152:153]
	v_fma_f64 v[152:153], v[72:73], s[10:11], v[152:153]
	v_add_f64_e32 v[40:41], v[118:119], v[40:41]
	v_add_f64_e32 v[50:51], v[50:51], v[80:81]
	;; [unrolled: 1-line block ×6, first 2 shown]
	v_fma_f64 v[26:27], v[72:73], s[6:7], -v[142:143]
	v_fma_f64 v[28:29], v[72:73], s[6:7], v[142:143]
	v_fma_f64 v[142:143], v[72:73], s[2:3], v[210:211]
	;; [unrolled: 1-line block ×3, first 2 shown]
	v_add_f64_e32 v[88:89], v[140:141], v[114:115]
	v_add_f64_e32 v[36:37], v[192:193], v[36:37]
	;; [unrolled: 1-line block ×3, first 2 shown]
	v_fma_f64 v[114:115], v[64:65], s[2:3], -v[154:155]
	v_fma_f64 v[118:119], v[68:69], s[2:3], v[236:237]
	v_add_f64_e32 v[70:71], v[74:75], v[144:145]
	v_add_f64_e32 v[84:85], v[84:85], v[86:87]
	;; [unrolled: 1-line block ×15, first 2 shown]
	v_fma_f64 v[98:99], v[68:69], s[6:7], v[212:213]
	v_fma_f64 v[102:103], v[68:69], s[10:11], v[214:215]
	;; [unrolled: 1-line block ×4, first 2 shown]
	v_fma_f64 v[64:65], v[64:65], s[12:13], -v[112:113]
	v_fma_f64 v[112:113], v[68:69], s[2:3], -v[236:237]
	;; [unrolled: 1-line block ×3, first 2 shown]
	v_add_f64_e32 v[40:41], v[124:125], v[40:41]
	v_add_f64_e32 v[50:51], v[82:83], v[50:51]
	;; [unrolled: 1-line block ×5, first 2 shown]
	v_fma_f64 v[24:25], v[68:69], s[14:15], v[44:45]
	v_fma_f64 v[18:19], v[68:69], s[14:15], -v[44:45]
	v_fma_f64 v[44:45], v[68:69], s[6:7], -v[212:213]
	;; [unrolled: 1-line block ×3, first 2 shown]
	v_fma_f64 v[68:69], v[68:69], s[12:13], v[104:105]
	v_add_f64_e32 v[36:37], v[148:149], v[36:37]
	v_add_f64_e32 v[38:39], v[150:151], v[38:39]
	v_add_f64_e32 v[70:71], v[152:153], v[70:71]
	v_add_f64_e32 v[84:85], v[218:219], v[84:85]
	v_add_f64_e32 v[26:27], v[26:27], v[86:87]
	v_add_f64_e32 v[86:87], v[208:209], v[88:89]
	v_add_f64_e32 v[28:29], v[28:29], v[92:93]
	v_add_f64_e32 v[74:75], v[126:127], v[74:75]
	v_add_f64_e32 v[82:83], v[142:143], v[34:35]
	v_add_f64_e32 v[52:53], v[52:53], v[108:109]
	v_add_f64_e32 v[46:47], v[46:47], v[48:49]
	v_add_f64_e32 v[88:89], v[110:111], v[94:95]
	v_add_f64_e32 v[42:43], v[220:221], v[42:43]
	v_add_f64_e32 v[76:77], v[76:77], v[96:97]
	v_add_f64_e32 v[48:49], v[30:31], v[78:79]
	v_add_f64_e32 v[78:79], v[90:91], v[32:33]
	v_add_f64_e32 v[66:67], v[66:67], v[22:23]
	v_add_f64_e32 v[72:73], v[72:73], v[20:21]
	v_add_f64_e32 v[80:81], v[156:157], v[80:81]
	v_add_f64_e32 v[90:91], v[14:15], v[10:11]
	v_add_f64_e32 v[92:93], v[12:13], v[8:9]
	v_add_f64_e32 v[94:95], v[158:159], v[16:17]
	v_add_f64_e32 v[22:23], v[114:115], v[38:39]
	v_add_f64_e32 v[38:39], v[64:65], v[50:51]
	v_add_f64_e32 v[20:21], v[118:119], v[70:71]
	v_add_f64_e32 v[10:11], v[184:185], v[84:85]
	v_add_f64_e32 v[8:9], v[18:19], v[26:27]
	v_add_f64_e32 v[14:15], v[54:55], v[86:87]
	v_add_f64_e32 v[12:13], v[24:25], v[28:29]
	v_add_f64_e32 v[26:27], v[130:131], v[74:75]
	v_add_f64_e32 v[24:25], v[128:129], v[40:41]
	v_add_f64_e32 v[18:19], v[106:107], v[36:37]
	v_add_f64_e32 v[36:37], v[68:69], v[82:83]
	v_add_f64_e32 v[34:35], v[200:201], v[52:53]
	v_add_f64_e32 v[32:33], v[98:99], v[46:47]
	v_add_f64_e32 v[16:17], v[112:113], v[88:89]
	v_add_f64_e32 v[30:31], v[186:187], v[42:43]
	v_add_f64_e32 v[28:29], v[44:45], v[76:77]
	v_add_f64_e32 v[42:43], v[116:117], v[48:49]
	v_add_f64_e32 v[40:41], v[120:121], v[78:79]
	v_add_f64_e32 v[50:51], v[202:203], v[66:67]
	v_add_f64_e32 v[48:49], v[102:103], v[72:73]
	v_add_f64_e32 v[46:47], v[188:189], v[80:81]
	v_mul_u32_u24_e32 v52, 0xc0, v56
	s_delay_alu instid0(VALU_DEP_1)
	v_add3_u32 v52, v139, v52, v137
	v_add_f64_e32 v[6:7], v[90:91], v[6:7]
	v_add_f64_e32 v[4:5], v[92:93], v[4:5]
	;; [unrolled: 1-line block ×3, first 2 shown]
	ds_store_b128 v52, v[12:15] offset:96
	ds_store_b128 v52, v[8:11] offset:112
	;; [unrolled: 1-line block ×11, first 2 shown]
	ds_store_b128 v52, v[4:7]
	ds_store_b128 v52, v[44:47] offset:192
.LBB0_21:
	s_or_b32 exec_lo, exec_lo, s33
	v_dual_mov_b32 v5, 0 :: v_dual_add_nc_u32 v48, -13, v56
	global_wb scope:SCOPE_SE
	s_wait_dscnt 0x0
	s_barrier_signal -1
	s_barrier_wait -1
	v_cndmask_b32_e64 v20, v48, v56, s0
	global_inv scope:SCOPE_SE
	s_mov_b32 s2, 0xf8bb580b
	s_mov_b32 s6, 0x8764f0ba
	;; [unrolled: 1-line block ×3, first 2 shown]
	v_mul_i32_i24_e32 v4, 10, v20
	s_mov_b32 s14, 0xd9c712b6
	s_mov_b32 s3, 0xbfe14ced
	;; [unrolled: 1-line block ×4, first 2 shown]
	v_lshlrev_b64_e32 v[4:5], 4, v[4:5]
	s_mov_b32 s15, 0x3fda9628
	s_mov_b32 s18, 0x43842ef
	s_mov_b32 s20, 0x640f44db
	s_mov_b32 s19, 0xbfefac9e
	s_mov_b32 s21, 0xbfc2375f
	v_add_co_u32 v8, s1, s4, v4
	s_wait_alu 0xf1ff
	v_add_co_ci_u32_e64 v9, s1, s5, v5, s1
	s_mov_b32 s24, 0xbb3a28a1
	s_mov_b32 s26, 0x7f775887
	;; [unrolled: 1-line block ×3, first 2 shown]
	s_clause 0x9
	global_load_b128 v[4:7], v[8:9], off
	global_load_b128 v[12:15], v[8:9], off offset:144
	global_load_b128 v[16:19], v[8:9], off offset:16
	;; [unrolled: 1-line block ×9, first 2 shown]
	ds_load_b128 v[8:11], v57 offset:416
	ds_load_b128 v[64:67], v57 offset:4160
	;; [unrolled: 1-line block ×10, first 2 shown]
	s_mov_b32 s27, 0xbfe4f49e
	s_mov_b32 s30, 0xfd768dbf
	;; [unrolled: 1-line block ×7, first 2 shown]
	s_wait_alu 0xfffe
	s_mov_b32 s10, s2
	s_mov_b32 s16, s12
	;; [unrolled: 1-line block ×8, first 2 shown]
	v_cmp_lt_u32_e64 s1, 12, v56
	s_wait_loadcnt_dscnt 0x909
	v_mul_f64_e32 v[45:46], v[10:11], v[6:7]
	v_mul_f64_e32 v[6:7], v[8:9], v[6:7]
	s_wait_loadcnt_dscnt 0x808
	v_mul_f64_e32 v[53:54], v[64:65], v[14:15]
	s_wait_loadcnt_dscnt 0x707
	;; [unrolled: 2-line block ×3, first 2 shown]
	v_mul_f64_e32 v[102:103], v[72:73], v[23:24]
	v_mul_f64_e32 v[18:19], v[70:71], v[18:19]
	s_wait_loadcnt_dscnt 0x505
	v_mul_f64_e32 v[106:107], v[76:77], v[27:28]
	s_wait_loadcnt_dscnt 0x404
	v_mul_f64_e32 v[108:109], v[80:81], v[31:32]
	v_mul_f64_e32 v[14:15], v[66:67], v[14:15]
	;; [unrolled: 1-line block ×4, first 2 shown]
	s_wait_loadcnt_dscnt 0x303
	v_mul_f64_e32 v[110:111], v[86:87], v[35:36]
	v_mul_f64_e32 v[31:32], v[82:83], v[31:32]
	;; [unrolled: 1-line block ×3, first 2 shown]
	s_wait_loadcnt_dscnt 0x201
	v_mul_f64_e32 v[112:113], v[94:95], v[39:40]
	v_mul_f64_e32 v[39:40], v[92:93], v[39:40]
	s_wait_loadcnt 0x1
	v_mul_f64_e32 v[114:115], v[90:91], v[43:44]
	v_mul_f64_e32 v[43:44], v[88:89], v[43:44]
	v_fma_f64 v[45:46], v[8:9], v[4:5], v[45:46]
	v_fma_f64 v[104:105], v[10:11], v[4:5], -v[6:7]
	ds_load_b128 v[4:7], v138
	s_wait_loadcnt_dscnt 0x1
	v_mul_f64_e32 v[116:117], v[98:99], v[51:52]
	v_mul_f64_e32 v[51:52], v[96:97], v[51:52]
	v_fma_f64 v[8:9], v[66:67], v[12:13], -v[53:54]
	v_fma_f64 v[53:54], v[70:71], v[16:17], -v[100:101]
	;; [unrolled: 1-line block ×3, first 2 shown]
	v_fma_f64 v[66:67], v[68:69], v[16:17], v[18:19]
	v_fma_f64 v[74:75], v[78:79], v[25:26], -v[106:107]
	v_fma_f64 v[16:17], v[82:83], v[29:30], -v[108:109]
	v_fma_f64 v[12:13], v[64:65], v[12:13], v[14:15]
	v_fma_f64 v[25:26], v[76:77], v[25:26], v[27:28]
	;; [unrolled: 1-line block ×5, first 2 shown]
	v_fma_f64 v[23:24], v[86:87], v[33:34], -v[35:36]
	v_fma_f64 v[27:28], v[92:93], v[37:38], v[112:113]
	v_fma_f64 v[29:30], v[94:95], v[37:38], -v[39:40]
	v_fma_f64 v[33:34], v[90:91], v[41:42], -v[43:44]
	v_fma_f64 v[31:32], v[88:89], v[41:42], v[114:115]
	global_wb scope:SCOPE_SE
	s_wait_dscnt 0x0
	s_barrier_signal -1
	s_barrier_wait -1
	global_inv scope:SCOPE_SE
	v_add_f64_e32 v[68:69], v[4:5], v[45:46]
	v_add_f64_e32 v[70:71], v[6:7], v[104:105]
	v_fma_f64 v[35:36], v[96:97], v[49:50], v[116:117]
	v_fma_f64 v[37:38], v[98:99], v[49:50], -v[51:52]
	v_add_f64_e64 v[39:40], v[104:105], -v[8:9]
	v_add_f64_e32 v[41:42], v[104:105], v[8:9]
	v_add_f64_e64 v[43:44], v[53:54], -v[10:11]
	v_add_f64_e32 v[49:50], v[53:54], v[10:11]
	;; [unrolled: 2-line block ×3, first 2 shown]
	v_add_f64_e32 v[76:77], v[25:26], v[18:19]
	v_add_f64_e64 v[78:79], v[25:26], -v[18:19]
	v_add_f64_e32 v[80:81], v[21:22], v[27:28]
	v_add_f64_e32 v[82:83], v[23:24], v[29:30]
	v_add_f64_e64 v[84:85], v[23:24], -v[29:30]
	v_add_f64_e64 v[86:87], v[21:22], -v[27:28]
	v_add_f64_e32 v[51:52], v[68:69], v[66:67]
	v_add_f64_e32 v[53:54], v[70:71], v[53:54]
	;; [unrolled: 1-line block ×3, first 2 shown]
	v_add_f64_e64 v[45:46], v[45:46], -v[12:13]
	v_add_f64_e32 v[90:91], v[33:34], v[37:38]
	v_mul_f64_e32 v[96:97], s[2:3], v[39:40]
	v_mul_f64_e32 v[98:99], s[6:7], v[41:42]
	;; [unrolled: 1-line block ×10, first 2 shown]
	v_add_f64_e32 v[68:69], v[74:75], v[16:17]
	v_add_f64_e64 v[66:67], v[66:67], -v[14:15]
	v_mul_f64_e32 v[112:113], s[12:13], v[43:44]
	v_mul_f64_e32 v[114:115], s[14:15], v[49:50]
	;; [unrolled: 1-line block ×4, first 2 shown]
	s_wait_alu 0xfffe
	v_mul_f64_e32 v[120:121], s[22:23], v[43:44]
	v_mul_f64_e32 v[122:123], s[20:21], v[49:50]
	;; [unrolled: 1-line block ×6, first 2 shown]
	v_add_f64_e32 v[88:89], v[31:32], v[35:36]
	v_add_f64_e64 v[92:93], v[31:32], -v[35:36]
	v_add_f64_e64 v[94:95], v[33:34], -v[37:38]
	v_mul_f64_e32 v[64:65], s[24:25], v[64:65]
	v_mul_f64_e32 v[143:144], s[24:25], v[84:85]
	;; [unrolled: 1-line block ×8, first 2 shown]
	v_add_f64_e32 v[25:26], v[51:52], v[25:26]
	v_add_f64_e32 v[51:52], v[53:54], v[74:75]
	v_mul_f64_e32 v[53:54], s[26:27], v[49:50]
	v_mul_f64_e32 v[74:75], s[36:37], v[43:44]
	;; [unrolled: 1-line block ×6, first 2 shown]
	v_fma_f64 v[175:176], v[70:71], s[14:15], v[100:101]
	v_fma_f64 v[177:178], v[45:46], s[16:17], v[102:103]
	v_fma_f64 v[100:101], v[70:71], s[14:15], -v[100:101]
	v_fma_f64 v[179:180], v[70:71], s[20:21], v[104:105]
	v_fma_f64 v[181:182], v[45:46], s[22:23], v[106:107]
	v_fma_f64 v[104:105], v[70:71], s[20:21], -v[104:105]
	v_fma_f64 v[183:184], v[70:71], s[26:27], v[108:109]
	v_fma_f64 v[185:186], v[45:46], s[28:29], v[110:111]
	v_mul_f64_e32 v[43:44], s[10:11], v[43:44]
	v_mul_f64_e32 v[49:50], s[6:7], v[49:50]
	v_fma_f64 v[108:109], v[70:71], s[26:27], -v[108:109]
	v_fma_f64 v[187:188], v[70:71], s[34:35], v[39:40]
	v_fma_f64 v[189:190], v[45:46], s[36:37], v[41:42]
	v_fma_f64 v[39:40], v[70:71], s[34:35], -v[39:40]
	v_fma_f64 v[41:42], v[45:46], s[30:31], v[41:42]
	v_fma_f64 v[110:111], v[45:46], s[24:25], v[110:111]
	;; [unrolled: 1-line block ×4, first 2 shown]
	v_mul_f64_e32 v[126:127], s[20:21], v[68:69]
	v_mul_f64_e32 v[130:131], s[34:35], v[68:69]
	v_fma_f64 v[191:192], v[72:73], s[26:27], v[116:117]
	v_mul_f64_e32 v[134:135], s[14:15], v[68:69]
	v_fma_f64 v[116:117], v[72:73], s[26:27], -v[116:117]
	v_fma_f64 v[197:198], v[66:67], s[30:31], v[118:119]
	v_mul_f64_e32 v[141:142], s[6:7], v[68:69]
	v_fma_f64 v[199:200], v[72:73], s[20:21], v[120:121]
	v_fma_f64 v[201:202], v[66:67], s[18:19], v[122:123]
	v_mul_f64_e32 v[68:69], s[26:27], v[68:69]
	v_fma_f64 v[120:121], v[72:73], s[20:21], -v[120:121]
	v_fma_f64 v[118:119], v[66:67], s[36:37], v[118:119]
	v_add_f64_e32 v[21:22], v[25:26], v[21:22]
	v_add_f64_e32 v[23:24], v[51:52], v[23:24]
	v_mul_f64_e32 v[25:26], s[20:21], v[90:91]
	v_fma_f64 v[51:52], v[70:71], s[6:7], v[96:97]
	v_fma_f64 v[90:91], v[45:46], s[10:11], v[98:99]
	v_fma_f64 v[96:97], v[70:71], s[6:7], -v[96:97]
	v_fma_f64 v[98:99], v[45:46], s[2:3], v[98:99]
	v_fma_f64 v[45:46], v[72:73], s[14:15], v[112:113]
	;; [unrolled: 1-line block ×3, first 2 shown]
	v_fma_f64 v[112:113], v[72:73], s[14:15], -v[112:113]
	v_fma_f64 v[114:115], v[66:67], s[12:13], v[114:115]
	v_fma_f64 v[193:194], v[66:67], s[28:29], v[53:54]
	v_add_f64_e32 v[175:176], v[4:5], v[175:176]
	v_add_f64_e32 v[177:178], v[6:7], v[177:178]
	v_fma_f64 v[195:196], v[72:73], s[34:35], v[74:75]
	v_add_f64_e32 v[100:101], v[4:5], v[100:101]
	v_add_f64_e32 v[179:180], v[4:5], v[179:180]
	v_add_f64_e32 v[181:182], v[6:7], v[181:182]
	v_fma_f64 v[74:75], v[72:73], s[34:35], -v[74:75]
	v_add_f64_e32 v[104:105], v[4:5], v[104:105]
	v_add_f64_e32 v[183:184], v[4:5], v[183:184]
	;; [unrolled: 1-line block ×7, first 2 shown]
	v_fma_f64 v[53:54], v[66:67], s[24:25], v[53:54]
	v_add_f64_e32 v[102:103], v[6:7], v[102:103]
	v_fma_f64 v[203:204], v[76:77], s[34:35], v[128:129]
	v_fma_f64 v[205:206], v[78:79], s[30:31], v[130:131]
	;; [unrolled: 1-line block ×4, first 2 shown]
	v_mul_f64_e32 v[157:158], s[34:35], v[82:83]
	v_mul_f64_e32 v[84:85], s[16:17], v[84:85]
	;; [unrolled: 1-line block ×3, first 2 shown]
	v_fma_f64 v[132:133], v[76:77], s[14:15], -v[132:133]
	v_fma_f64 v[134:135], v[78:79], s[16:17], v[134:135]
	v_fma_f64 v[128:129], v[76:77], s[34:35], -v[128:129]
	v_add_f64_e32 v[21:22], v[21:22], v[31:32]
	v_add_f64_e32 v[23:24], v[23:24], v[33:34]
	v_fma_f64 v[31:32], v[66:67], s[22:23], v[122:123]
	v_add_f64_e32 v[51:52], v[4:5], v[51:52]
	v_fma_f64 v[33:34], v[72:73], s[6:7], v[43:44]
	v_add_f64_e32 v[96:97], v[4:5], v[96:97]
	v_add_f64_e32 v[98:99], v[6:7], v[98:99]
	v_fma_f64 v[122:123], v[66:67], s[2:3], v[49:50]
	v_fma_f64 v[43:44], v[72:73], s[6:7], -v[43:44]
	v_fma_f64 v[49:50], v[66:67], s[10:11], v[49:50]
	v_add_f64_e32 v[4:5], v[4:5], v[39:40]
	v_add_f64_e32 v[39:40], v[6:7], v[41:42]
	;; [unrolled: 1-line block ×4, first 2 shown]
	v_fma_f64 v[66:67], v[76:77], s[20:21], v[124:125]
	v_fma_f64 v[72:73], v[78:79], s[22:23], v[126:127]
	v_fma_f64 v[124:125], v[76:77], s[20:21], -v[124:125]
	v_fma_f64 v[126:127], v[78:79], s[18:19], v[126:127]
	v_add_f64_e32 v[100:101], v[116:117], v[100:101]
	v_add_f64_e32 v[116:117], v[197:198], v[181:182]
	;; [unrolled: 1-line block ×4, first 2 shown]
	v_fma_f64 v[90:91], v[76:77], s[6:7], -v[139:140]
	v_fma_f64 v[110:111], v[78:79], s[2:3], v[141:142]
	v_add_f64_e32 v[108:109], v[120:121], v[108:109]
	v_fma_f64 v[130:131], v[78:79], s[36:37], v[130:131]
	v_mul_f64_e32 v[163:164], s[10:11], v[94:95]
	v_fma_f64 v[211:212], v[80:81], s[20:21], v[147:148]
	v_fma_f64 v[213:214], v[86:87], s[18:19], v[149:150]
	v_mul_f64_e32 v[159:160], s[30:31], v[94:95]
	v_mul_f64_e32 v[167:168], s[24:25], v[94:95]
	;; [unrolled: 1-line block ×4, first 2 shown]
	v_fma_f64 v[147:148], v[80:81], s[20:21], -v[147:148]
	v_fma_f64 v[149:150], v[86:87], s[22:23], v[149:150]
	v_add_f64_e32 v[21:22], v[21:22], v[35:36]
	v_add_f64_e32 v[23:24], v[23:24], v[37:38]
	v_fma_f64 v[35:36], v[76:77], s[6:7], v[139:140]
	v_add_f64_e32 v[45:46], v[45:46], v[51:52]
	v_fma_f64 v[37:38], v[78:79], s[10:11], v[141:142]
	v_add_f64_e32 v[51:52], v[112:113], v[96:97]
	v_add_f64_e32 v[96:97], v[114:115], v[98:99]
	;; [unrolled: 1-line block ×6, first 2 shown]
	v_fma_f64 v[139:140], v[76:77], s[26:27], v[64:65]
	v_fma_f64 v[141:142], v[78:79], s[28:29], v[68:69]
	v_add_f64_e32 v[33:34], v[33:34], v[187:188]
	v_add_f64_e32 v[120:121], v[122:123], v[189:190]
	v_fma_f64 v[64:65], v[76:77], s[26:27], -v[64:65]
	v_fma_f64 v[68:69], v[78:79], s[24:25], v[68:69]
	v_add_f64_e32 v[4:5], v[43:44], v[4:5]
	v_add_f64_e32 v[39:40], v[49:50], v[39:40]
	;; [unrolled: 1-line block ×6, first 2 shown]
	v_fma_f64 v[76:77], v[80:81], s[26:27], v[143:144]
	v_fma_f64 v[78:79], v[86:87], s[28:29], v[145:146]
	v_fma_f64 v[143:144], v[80:81], s[26:27], -v[143:144]
	v_fma_f64 v[145:146], v[86:87], s[24:25], v[145:146]
	v_fma_f64 v[70:71], v[80:81], s[34:35], v[155:156]
	;; [unrolled: 1-line block ×3, first 2 shown]
	v_fma_f64 v[49:50], v[80:81], s[6:7], -v[151:152]
	v_fma_f64 v[106:107], v[80:81], s[34:35], -v[155:156]
	v_fma_f64 v[122:123], v[80:81], s[14:15], v[84:85]
	v_add_f64_e32 v[74:75], v[132:133], v[74:75]
	v_add_f64_e32 v[90:91], v[90:91], v[108:109]
	v_fma_f64 v[118:119], v[86:87], s[30:31], v[157:158]
	v_fma_f64 v[53:54], v[86:87], s[2:3], v[153:154]
	v_add_f64_e32 v[100:101], v[128:129], v[100:101]
	v_fma_f64 v[155:156], v[92:93], s[30:31], v[161:162]
	v_add_f64_e32 v[21:22], v[21:22], v[27:28]
	v_add_f64_e32 v[23:24], v[23:24], v[29:30]
	v_fma_f64 v[27:28], v[80:81], s[6:7], v[151:152]
	v_add_f64_e32 v[45:46], v[66:67], v[45:46]
	v_fma_f64 v[29:30], v[86:87], s[10:11], v[153:154]
	v_add_f64_e32 v[51:52], v[124:125], v[51:52]
	v_add_f64_e32 v[66:67], v[126:127], v[96:97]
	;; [unrolled: 1-line block ×8, first 2 shown]
	v_fma_f64 v[151:152], v[86:87], s[12:13], v[82:83]
	v_add_f64_e32 v[33:34], v[139:140], v[33:34]
	v_add_f64_e32 v[104:105], v[141:142], v[120:121]
	v_fma_f64 v[80:81], v[80:81], s[14:15], -v[84:85]
	v_fma_f64 v[82:83], v[86:87], s[16:17], v[82:83]
	v_add_f64_e32 v[4:5], v[64:65], v[4:5]
	v_add_f64_e32 v[39:40], v[68:69], v[39:40]
	;; [unrolled: 1-line block ×6, first 2 shown]
	v_fma_f64 v[86:87], v[92:93], s[36:37], v[161:162]
	v_fma_f64 v[68:69], v[92:93], s[10:11], v[165:166]
	;; [unrolled: 1-line block ×11, first 2 shown]
	v_add_f64_e32 v[49:50], v[49:50], v[74:75]
	v_fma_f64 v[153:154], v[88:89], s[34:35], -v[159:160]
	v_fma_f64 v[64:65], v[88:89], s[6:7], -v[163:164]
	v_add_f64_e32 v[18:19], v[21:22], v[18:19]
	v_add_f64_e32 v[16:17], v[23:24], v[16:17]
	v_fma_f64 v[21:22], v[88:89], s[6:7], v[163:164]
	v_fma_f64 v[23:24], v[92:93], s[2:3], v[165:166]
	;; [unrolled: 1-line block ×3, first 2 shown]
	v_add_f64_e32 v[25:26], v[76:77], v[45:46]
	v_add_f64_e32 v[45:46], v[143:144], v[51:52]
	;; [unrolled: 1-line block ×12, first 2 shown]
	v_fma_f64 v[110:111], v[88:89], s[26:27], -v[167:168]
	v_fma_f64 v[126:127], v[88:89], s[14:15], -v[171:172]
	;; [unrolled: 1-line block ×3, first 2 shown]
	v_add_f64_e32 v[80:81], v[80:81], v[4:5]
	v_add_f64_e32 v[39:40], v[82:83], v[39:40]
	;; [unrolled: 1-line block ×31, first 2 shown]
	s_wait_alu 0xf1ff
	v_cndmask_b32_e64 v8, 0, 0x8f0, s1
	v_lshlrev_b32_e32 v9, 4, v20
	s_delay_alu instid0(VALU_DEP_2) | instskip(NEXT) | instid1(VALU_DEP_1)
	v_add_nc_u32_e32 v8, 0, v8
	v_add3_u32 v8, v8, v9, v137
	ds_store_b128 v8, v[14:17] offset:416
	ds_store_b128 v8, v[25:28] offset:624
	;; [unrolled: 1-line block ×9, first 2 shown]
	ds_store_b128 v8, v[64:67]
	ds_store_b128 v8, v[10:13] offset:208
	global_wb scope:SCOPE_SE
	s_wait_dscnt 0x0
	s_barrier_signal -1
	s_barrier_wait -1
	global_inv scope:SCOPE_SE
	ds_load_b128 v[12:15], v138
	ds_load_b128 v[16:19], v57 offset:416
	ds_load_b128 v[28:31], v57 offset:2704
	;; [unrolled: 1-line block ×9, first 2 shown]
	s_and_saveexec_b32 s1, s0
	s_cbranch_execz .LBB0_23
; %bb.22:
	ds_load_b128 v[4:7], v57 offset:2080
	ds_load_b128 v[0:3], v57 offset:4368
	v_add_nc_u32_e32 v48, 0x82, v56
.LBB0_23:
	s_wait_alu 0xfffe
	s_or_b32 exec_lo, exec_lo, s1
	v_add_co_u32 v49, s1, s4, v60
	s_wait_alu 0xf1ff
	v_add_co_ci_u32_e64 v50, s1, s5, v61, s1
	v_add_co_u32 v53, s1, s4, v62
	s_wait_alu 0xf1ff
	v_add_co_ci_u32_e64 v54, s1, s5, v63, s1
	s_clause 0x4
	global_load_b128 v[49:52], v[49:50], off offset:2080
	global_load_b128 v[60:63], v[53:54], off offset:2496
	;; [unrolled: 1-line block ×5, first 2 shown]
	global_wb scope:SCOPE_SE
	s_wait_loadcnt_dscnt 0x0
	s_barrier_signal -1
	s_barrier_wait -1
	global_inv scope:SCOPE_SE
	v_mul_f64_e32 v[53:54], v[46:47], v[51:52]
	v_mul_f64_e32 v[51:52], v[44:45], v[51:52]
	;; [unrolled: 1-line block ×10, first 2 shown]
	v_fma_f64 v[44:45], v[44:45], v[49:50], v[53:54]
	v_fma_f64 v[46:47], v[46:47], v[49:50], -v[51:52]
	v_fma_f64 v[49:50], v[28:29], v[60:61], v[76:77]
	v_fma_f64 v[51:52], v[30:31], v[60:61], -v[62:63]
	;; [unrolled: 2-line block ×5, first 2 shown]
	v_add_f64_e64 v[28:29], v[12:13], -v[44:45]
	v_add_f64_e64 v[30:31], v[14:15], -v[46:47]
	;; [unrolled: 1-line block ×10, first 2 shown]
	v_fma_f64 v[12:13], v[12:13], 2.0, -v[28:29]
	v_fma_f64 v[14:15], v[14:15], 2.0, -v[30:31]
	;; [unrolled: 1-line block ×10, first 2 shown]
	ds_store_b128 v57, v[32:35] offset:2704
	ds_store_b128 v57, v[36:39] offset:3120
	ds_store_b128 v57, v[12:15]
	ds_store_b128 v57, v[16:19] offset:416
	ds_store_b128 v57, v[24:27] offset:832
	;; [unrolled: 1-line block ×7, first 2 shown]
	s_and_saveexec_b32 s1, s0
	s_cbranch_execz .LBB0_25
; %bb.24:
	v_mov_b32_e32 v49, 0
	s_delay_alu instid0(VALU_DEP_1) | instskip(NEXT) | instid1(VALU_DEP_1)
	v_lshlrev_b64_e32 v[8:9], 4, v[48:49]
	v_add_co_u32 v8, s0, s4, v8
	s_wait_alu 0xf1ff
	s_delay_alu instid0(VALU_DEP_2) | instskip(SKIP_4) | instid1(VALU_DEP_2)
	v_add_co_ci_u32_e64 v9, s0, s5, v9, s0
	global_load_b128 v[8:11], v[8:9], off offset:2080
	s_wait_loadcnt 0x0
	v_mul_f64_e32 v[12:13], v[0:1], v[10:11]
	v_mul_f64_e32 v[10:11], v[2:3], v[10:11]
	v_fma_f64 v[2:3], v[2:3], v[8:9], -v[12:13]
	s_delay_alu instid0(VALU_DEP_2) | instskip(NEXT) | instid1(VALU_DEP_2)
	v_fma_f64 v[0:1], v[0:1], v[8:9], v[10:11]
	v_add_f64_e64 v[2:3], v[6:7], -v[2:3]
	s_delay_alu instid0(VALU_DEP_2) | instskip(NEXT) | instid1(VALU_DEP_2)
	v_add_f64_e64 v[0:1], v[4:5], -v[0:1]
	v_fma_f64 v[6:7], v[6:7], 2.0, -v[2:3]
	s_delay_alu instid0(VALU_DEP_2)
	v_fma_f64 v[4:5], v[4:5], 2.0, -v[0:1]
	ds_store_b128 v57, v[4:7] offset:2080
	ds_store_b128 v57, v[0:3] offset:4368
.LBB0_25:
	s_wait_alu 0xfffe
	s_or_b32 exec_lo, exec_lo, s1
	global_wb scope:SCOPE_SE
	s_wait_dscnt 0x0
	s_barrier_signal -1
	s_barrier_wait -1
	global_inv scope:SCOPE_SE
	s_and_saveexec_b32 s0, vcc_lo
	s_cbranch_execz .LBB0_27
; %bb.26:
	v_lshl_add_u32 v28, v56, 4, v136
	v_dual_mov_b32 v57, 0 :: v_dual_add_nc_u32 v8, 26, v56
	v_add_co_u32 v30, vcc_lo, s8, v58
	ds_load_b128 v[0:3], v28
	ds_load_b128 v[4:7], v28 offset:416
	v_dual_mov_b32 v9, v57 :: v_dual_add_nc_u32 v12, 52, v56
	v_lshlrev_b64_e32 v[10:11], 4, v[56:57]
	s_wait_alu 0xfffd
	v_add_co_ci_u32_e32 v31, vcc_lo, s9, v59, vcc_lo
	s_delay_alu instid0(VALU_DEP_3) | instskip(SKIP_1) | instid1(VALU_DEP_4)
	v_lshlrev_b64_e32 v[8:9], 4, v[8:9]
	v_dual_mov_b32 v13, v57 :: v_dual_add_nc_u32 v14, 0x4e, v56
	v_add_co_u32 v10, vcc_lo, v30, v10
	s_wait_alu 0xfffd
	v_add_co_ci_u32_e32 v11, vcc_lo, v31, v11, vcc_lo
	s_delay_alu instid0(VALU_DEP_4)
	v_add_co_u32 v8, vcc_lo, v30, v8
	s_wait_alu 0xfffd
	v_add_co_ci_u32_e32 v9, vcc_lo, v31, v9, vcc_lo
	v_lshlrev_b64_e32 v[12:13], 4, v[12:13]
	v_mov_b32_e32 v15, v57
	v_dual_mov_b32 v23, v57 :: v_dual_add_nc_u32 v24, 0x9c, v56
	s_wait_dscnt 0x1
	global_store_b128 v[10:11], v[0:3], off
	s_wait_dscnt 0x0
	global_store_b128 v[8:9], v[4:7], off
	v_dual_mov_b32 v9, v57 :: v_dual_add_nc_u32 v8, 0x68, v56
	v_add_nc_u32_e32 v22, 0x82, v56
	ds_load_b128 v[0:3], v28 offset:832
	ds_load_b128 v[4:7], v28 offset:1248
	v_add_co_u32 v16, vcc_lo, v30, v12
	s_wait_alu 0xfffd
	v_add_co_ci_u32_e32 v17, vcc_lo, v31, v13, vcc_lo
	v_lshlrev_b64_e32 v[18:19], 4, v[14:15]
	v_lshlrev_b64_e32 v[20:21], 4, v[8:9]
	ds_load_b128 v[8:11], v28 offset:1664
	ds_load_b128 v[12:15], v28 offset:2080
	v_lshlrev_b64_e32 v[22:23], 4, v[22:23]
	v_mov_b32_e32 v25, v57
	v_add_co_u32 v18, vcc_lo, v30, v18
	s_wait_alu 0xfffd
	v_add_co_ci_u32_e32 v19, vcc_lo, v31, v19, vcc_lo
	v_add_co_u32 v20, vcc_lo, v30, v20
	s_wait_alu 0xfffd
	v_add_co_ci_u32_e32 v21, vcc_lo, v31, v21, vcc_lo
	v_add_co_u32 v22, vcc_lo, v30, v22
	s_wait_dscnt 0x3
	global_store_b128 v[16:17], v[0:3], off
	s_wait_dscnt 0x2
	global_store_b128 v[18:19], v[4:7], off
	v_dual_mov_b32 v3, v57 :: v_dual_add_nc_u32 v2, 0xb6, v56
	s_wait_alu 0xfffd
	v_add_co_ci_u32_e32 v23, vcc_lo, v31, v23, vcc_lo
	v_lshlrev_b64_e32 v[0:1], 4, v[24:25]
	s_wait_dscnt 0x1
	global_store_b128 v[20:21], v[8:11], off
	s_wait_dscnt 0x0
	global_store_b128 v[22:23], v[12:15], off
	v_add_nc_u32_e32 v10, 0xd0, v56
	v_lshlrev_b64_e32 v[8:9], 4, v[2:3]
	v_dual_mov_b32 v11, v57 :: v_dual_add_nc_u32 v24, 0xea, v56
	v_add_co_u32 v20, vcc_lo, v30, v0
	s_wait_alu 0xfffd
	v_add_co_ci_u32_e32 v21, vcc_lo, v31, v1, vcc_lo
	s_delay_alu instid0(VALU_DEP_4)
	v_add_co_u32 v22, vcc_lo, v30, v8
	ds_load_b128 v[0:3], v28 offset:2496
	ds_load_b128 v[4:7], v28 offset:2912
	s_wait_alu 0xfffd
	v_add_co_ci_u32_e32 v23, vcc_lo, v31, v9, vcc_lo
	v_lshlrev_b64_e32 v[26:27], 4, v[10:11]
	ds_load_b128 v[8:11], v28 offset:3328
	ds_load_b128 v[12:15], v28 offset:3744
	;; [unrolled: 1-line block ×3, first 2 shown]
	v_add_nc_u32_e32 v56, 0x104, v56
	v_lshlrev_b64_e32 v[24:25], 4, v[24:25]
	v_add_co_u32 v26, vcc_lo, v30, v26
	s_delay_alu instid0(VALU_DEP_3) | instskip(SKIP_2) | instid1(VALU_DEP_4)
	v_lshlrev_b64_e32 v[28:29], 4, v[56:57]
	s_wait_alu 0xfffd
	v_add_co_ci_u32_e32 v27, vcc_lo, v31, v27, vcc_lo
	v_add_co_u32 v24, vcc_lo, v30, v24
	s_wait_alu 0xfffd
	v_add_co_ci_u32_e32 v25, vcc_lo, v31, v25, vcc_lo
	v_add_co_u32 v28, vcc_lo, v30, v28
	s_wait_alu 0xfffd
	v_add_co_ci_u32_e32 v29, vcc_lo, v31, v29, vcc_lo
	s_wait_dscnt 0x4
	global_store_b128 v[20:21], v[0:3], off
	s_wait_dscnt 0x3
	global_store_b128 v[22:23], v[4:7], off
	;; [unrolled: 2-line block ×5, first 2 shown]
.LBB0_27:
	s_nop 0
	s_sendmsg sendmsg(MSG_DEALLOC_VGPRS)
	s_endpgm
	.section	.rodata,"a",@progbits
	.p2align	6, 0x0
	.amdhsa_kernel fft_rtc_back_len286_factors_13_11_2_wgs_52_tpt_26_dp_ip_CI_unitstride_sbrr_C2R_dirReg
		.amdhsa_group_segment_fixed_size 0
		.amdhsa_private_segment_fixed_size 0
		.amdhsa_kernarg_size 88
		.amdhsa_user_sgpr_count 2
		.amdhsa_user_sgpr_dispatch_ptr 0
		.amdhsa_user_sgpr_queue_ptr 0
		.amdhsa_user_sgpr_kernarg_segment_ptr 1
		.amdhsa_user_sgpr_dispatch_id 0
		.amdhsa_user_sgpr_private_segment_size 0
		.amdhsa_wavefront_size32 1
		.amdhsa_uses_dynamic_stack 0
		.amdhsa_enable_private_segment 0
		.amdhsa_system_sgpr_workgroup_id_x 1
		.amdhsa_system_sgpr_workgroup_id_y 0
		.amdhsa_system_sgpr_workgroup_id_z 0
		.amdhsa_system_sgpr_workgroup_info 0
		.amdhsa_system_vgpr_workitem_id 0
		.amdhsa_next_free_vgpr 244
		.amdhsa_next_free_sgpr 38
		.amdhsa_reserve_vcc 1
		.amdhsa_float_round_mode_32 0
		.amdhsa_float_round_mode_16_64 0
		.amdhsa_float_denorm_mode_32 3
		.amdhsa_float_denorm_mode_16_64 3
		.amdhsa_fp16_overflow 0
		.amdhsa_workgroup_processor_mode 1
		.amdhsa_memory_ordered 1
		.amdhsa_forward_progress 0
		.amdhsa_round_robin_scheduling 0
		.amdhsa_exception_fp_ieee_invalid_op 0
		.amdhsa_exception_fp_denorm_src 0
		.amdhsa_exception_fp_ieee_div_zero 0
		.amdhsa_exception_fp_ieee_overflow 0
		.amdhsa_exception_fp_ieee_underflow 0
		.amdhsa_exception_fp_ieee_inexact 0
		.amdhsa_exception_int_div_zero 0
	.end_amdhsa_kernel
	.text
.Lfunc_end0:
	.size	fft_rtc_back_len286_factors_13_11_2_wgs_52_tpt_26_dp_ip_CI_unitstride_sbrr_C2R_dirReg, .Lfunc_end0-fft_rtc_back_len286_factors_13_11_2_wgs_52_tpt_26_dp_ip_CI_unitstride_sbrr_C2R_dirReg
                                        ; -- End function
	.section	.AMDGPU.csdata,"",@progbits
; Kernel info:
; codeLenInByte = 9912
; NumSgprs: 40
; NumVgprs: 244
; ScratchSize: 0
; MemoryBound: 0
; FloatMode: 240
; IeeeMode: 1
; LDSByteSize: 0 bytes/workgroup (compile time only)
; SGPRBlocks: 4
; VGPRBlocks: 30
; NumSGPRsForWavesPerEU: 40
; NumVGPRsForWavesPerEU: 244
; Occupancy: 5
; WaveLimiterHint : 1
; COMPUTE_PGM_RSRC2:SCRATCH_EN: 0
; COMPUTE_PGM_RSRC2:USER_SGPR: 2
; COMPUTE_PGM_RSRC2:TRAP_HANDLER: 0
; COMPUTE_PGM_RSRC2:TGID_X_EN: 1
; COMPUTE_PGM_RSRC2:TGID_Y_EN: 0
; COMPUTE_PGM_RSRC2:TGID_Z_EN: 0
; COMPUTE_PGM_RSRC2:TIDIG_COMP_CNT: 0
	.text
	.p2alignl 7, 3214868480
	.fill 96, 4, 3214868480
	.type	__hip_cuid_9f9ff6b4aa6466ae,@object ; @__hip_cuid_9f9ff6b4aa6466ae
	.section	.bss,"aw",@nobits
	.globl	__hip_cuid_9f9ff6b4aa6466ae
__hip_cuid_9f9ff6b4aa6466ae:
	.byte	0                               ; 0x0
	.size	__hip_cuid_9f9ff6b4aa6466ae, 1

	.ident	"AMD clang version 19.0.0git (https://github.com/RadeonOpenCompute/llvm-project roc-6.4.0 25133 c7fe45cf4b819c5991fe208aaa96edf142730f1d)"
	.section	".note.GNU-stack","",@progbits
	.addrsig
	.addrsig_sym __hip_cuid_9f9ff6b4aa6466ae
	.amdgpu_metadata
---
amdhsa.kernels:
  - .args:
      - .actual_access:  read_only
        .address_space:  global
        .offset:         0
        .size:           8
        .value_kind:     global_buffer
      - .offset:         8
        .size:           8
        .value_kind:     by_value
      - .actual_access:  read_only
        .address_space:  global
        .offset:         16
        .size:           8
        .value_kind:     global_buffer
      - .actual_access:  read_only
        .address_space:  global
        .offset:         24
        .size:           8
        .value_kind:     global_buffer
      - .offset:         32
        .size:           8
        .value_kind:     by_value
      - .actual_access:  read_only
        .address_space:  global
        .offset:         40
        .size:           8
        .value_kind:     global_buffer
      - .actual_access:  read_only
        .address_space:  global
        .offset:         48
        .size:           8
        .value_kind:     global_buffer
      - .offset:         56
        .size:           4
        .value_kind:     by_value
      - .actual_access:  read_only
        .address_space:  global
        .offset:         64
        .size:           8
        .value_kind:     global_buffer
      - .actual_access:  read_only
        .address_space:  global
        .offset:         72
        .size:           8
        .value_kind:     global_buffer
      - .address_space:  global
        .offset:         80
        .size:           8
        .value_kind:     global_buffer
    .group_segment_fixed_size: 0
    .kernarg_segment_align: 8
    .kernarg_segment_size: 88
    .language:       OpenCL C
    .language_version:
      - 2
      - 0
    .max_flat_workgroup_size: 52
    .name:           fft_rtc_back_len286_factors_13_11_2_wgs_52_tpt_26_dp_ip_CI_unitstride_sbrr_C2R_dirReg
    .private_segment_fixed_size: 0
    .sgpr_count:     40
    .sgpr_spill_count: 0
    .symbol:         fft_rtc_back_len286_factors_13_11_2_wgs_52_tpt_26_dp_ip_CI_unitstride_sbrr_C2R_dirReg.kd
    .uniform_work_group_size: 1
    .uses_dynamic_stack: false
    .vgpr_count:     244
    .vgpr_spill_count: 0
    .wavefront_size: 32
    .workgroup_processor_mode: 1
amdhsa.target:   amdgcn-amd-amdhsa--gfx1201
amdhsa.version:
  - 1
  - 2
...

	.end_amdgpu_metadata
